;; amdgpu-corpus repo=ROCm/rocFFT kind=compiled arch=gfx906 opt=O3
	.text
	.amdgcn_target "amdgcn-amd-amdhsa--gfx906"
	.amdhsa_code_object_version 6
	.protected	fft_rtc_back_len300_factors_10_10_3_wgs_60_tpt_30_halfLds_sp_op_CI_CI_unitstride_sbrr_C2R_dirReg ; -- Begin function fft_rtc_back_len300_factors_10_10_3_wgs_60_tpt_30_halfLds_sp_op_CI_CI_unitstride_sbrr_C2R_dirReg
	.globl	fft_rtc_back_len300_factors_10_10_3_wgs_60_tpt_30_halfLds_sp_op_CI_CI_unitstride_sbrr_C2R_dirReg
	.p2align	8
	.type	fft_rtc_back_len300_factors_10_10_3_wgs_60_tpt_30_halfLds_sp_op_CI_CI_unitstride_sbrr_C2R_dirReg,@function
fft_rtc_back_len300_factors_10_10_3_wgs_60_tpt_30_halfLds_sp_op_CI_CI_unitstride_sbrr_C2R_dirReg: ; @fft_rtc_back_len300_factors_10_10_3_wgs_60_tpt_30_halfLds_sp_op_CI_CI_unitstride_sbrr_C2R_dirReg
; %bb.0:
	s_load_dwordx4 s[8:11], s[4:5], 0x58
	s_load_dwordx4 s[12:15], s[4:5], 0x0
	;; [unrolled: 1-line block ×3, first 2 shown]
	v_mul_u32_u24_e32 v1, 0x889, v0
	v_lshrrev_b32_e32 v7, 16, v1
	v_mov_b32_e32 v3, 0
	s_waitcnt lgkmcnt(0)
	v_cmp_lt_u64_e64 s[0:1], s[14:15], 2
	v_mov_b32_e32 v1, 0
	v_lshl_add_u32 v5, s6, 1, v7
	v_mov_b32_e32 v6, v3
	s_and_b64 vcc, exec, s[0:1]
	v_mov_b32_e32 v2, 0
	s_cbranch_vccnz .LBB0_8
; %bb.1:
	s_load_dwordx2 s[0:1], s[4:5], 0x10
	s_add_u32 s2, s18, 8
	s_addc_u32 s3, s19, 0
	s_add_u32 s6, s16, 8
	v_mov_b32_e32 v1, 0
	s_addc_u32 s7, s17, 0
	v_mov_b32_e32 v2, 0
	s_waitcnt lgkmcnt(0)
	s_add_u32 s20, s0, 8
	v_mov_b32_e32 v21, v2
	s_addc_u32 s21, s1, 0
	s_mov_b64 s[22:23], 1
	v_mov_b32_e32 v20, v1
.LBB0_2:                                ; =>This Inner Loop Header: Depth=1
	s_load_dwordx2 s[24:25], s[20:21], 0x0
                                        ; implicit-def: $vgpr22_vgpr23
	s_waitcnt lgkmcnt(0)
	v_or_b32_e32 v4, s25, v6
	v_cmp_ne_u64_e32 vcc, 0, v[3:4]
	s_and_saveexec_b64 s[0:1], vcc
	s_xor_b64 s[26:27], exec, s[0:1]
	s_cbranch_execz .LBB0_4
; %bb.3:                                ;   in Loop: Header=BB0_2 Depth=1
	v_cvt_f32_u32_e32 v4, s24
	v_cvt_f32_u32_e32 v8, s25
	s_sub_u32 s0, 0, s24
	s_subb_u32 s1, 0, s25
	v_mac_f32_e32 v4, 0x4f800000, v8
	v_rcp_f32_e32 v4, v4
	v_mul_f32_e32 v4, 0x5f7ffffc, v4
	v_mul_f32_e32 v8, 0x2f800000, v4
	v_trunc_f32_e32 v8, v8
	v_mac_f32_e32 v4, 0xcf800000, v8
	v_cvt_u32_f32_e32 v8, v8
	v_cvt_u32_f32_e32 v4, v4
	v_mul_lo_u32 v9, s0, v8
	v_mul_hi_u32 v10, s0, v4
	v_mul_lo_u32 v12, s1, v4
	v_mul_lo_u32 v11, s0, v4
	v_add_u32_e32 v9, v10, v9
	v_add_u32_e32 v9, v9, v12
	v_mul_hi_u32 v10, v4, v11
	v_mul_lo_u32 v12, v4, v9
	v_mul_hi_u32 v14, v4, v9
	v_mul_hi_u32 v13, v8, v11
	v_mul_lo_u32 v11, v8, v11
	v_mul_hi_u32 v15, v8, v9
	v_add_co_u32_e32 v10, vcc, v10, v12
	v_addc_co_u32_e32 v12, vcc, 0, v14, vcc
	v_mul_lo_u32 v9, v8, v9
	v_add_co_u32_e32 v10, vcc, v10, v11
	v_addc_co_u32_e32 v10, vcc, v12, v13, vcc
	v_addc_co_u32_e32 v11, vcc, 0, v15, vcc
	v_add_co_u32_e32 v9, vcc, v10, v9
	v_addc_co_u32_e32 v10, vcc, 0, v11, vcc
	v_add_co_u32_e32 v4, vcc, v4, v9
	v_addc_co_u32_e32 v8, vcc, v8, v10, vcc
	v_mul_lo_u32 v9, s0, v8
	v_mul_hi_u32 v10, s0, v4
	v_mul_lo_u32 v11, s1, v4
	v_mul_lo_u32 v12, s0, v4
	v_add_u32_e32 v9, v10, v9
	v_add_u32_e32 v9, v9, v11
	v_mul_lo_u32 v13, v4, v9
	v_mul_hi_u32 v14, v4, v12
	v_mul_hi_u32 v15, v4, v9
	;; [unrolled: 1-line block ×3, first 2 shown]
	v_mul_lo_u32 v12, v8, v12
	v_mul_hi_u32 v10, v8, v9
	v_add_co_u32_e32 v13, vcc, v14, v13
	v_addc_co_u32_e32 v14, vcc, 0, v15, vcc
	v_mul_lo_u32 v9, v8, v9
	v_add_co_u32_e32 v12, vcc, v13, v12
	v_addc_co_u32_e32 v11, vcc, v14, v11, vcc
	v_addc_co_u32_e32 v10, vcc, 0, v10, vcc
	v_add_co_u32_e32 v9, vcc, v11, v9
	v_addc_co_u32_e32 v10, vcc, 0, v10, vcc
	v_add_co_u32_e32 v4, vcc, v4, v9
	v_addc_co_u32_e32 v10, vcc, v8, v10, vcc
	v_mad_u64_u32 v[8:9], s[0:1], v5, v10, 0
	v_mul_hi_u32 v11, v5, v4
	v_add_co_u32_e32 v12, vcc, v11, v8
	v_addc_co_u32_e32 v13, vcc, 0, v9, vcc
	v_mad_u64_u32 v[8:9], s[0:1], v6, v4, 0
	v_mad_u64_u32 v[10:11], s[0:1], v6, v10, 0
	v_add_co_u32_e32 v4, vcc, v12, v8
	v_addc_co_u32_e32 v4, vcc, v13, v9, vcc
	v_addc_co_u32_e32 v8, vcc, 0, v11, vcc
	v_add_co_u32_e32 v4, vcc, v4, v10
	v_addc_co_u32_e32 v10, vcc, 0, v8, vcc
	v_mul_lo_u32 v11, s25, v4
	v_mul_lo_u32 v12, s24, v10
	v_mad_u64_u32 v[8:9], s[0:1], s24, v4, 0
	v_add3_u32 v9, v9, v12, v11
	v_sub_u32_e32 v11, v6, v9
	v_mov_b32_e32 v12, s25
	v_sub_co_u32_e32 v8, vcc, v5, v8
	v_subb_co_u32_e64 v11, s[0:1], v11, v12, vcc
	v_subrev_co_u32_e64 v12, s[0:1], s24, v8
	v_subbrev_co_u32_e64 v11, s[0:1], 0, v11, s[0:1]
	v_cmp_le_u32_e64 s[0:1], s25, v11
	v_cndmask_b32_e64 v13, 0, -1, s[0:1]
	v_cmp_le_u32_e64 s[0:1], s24, v12
	v_cndmask_b32_e64 v12, 0, -1, s[0:1]
	v_cmp_eq_u32_e64 s[0:1], s25, v11
	v_cndmask_b32_e64 v11, v13, v12, s[0:1]
	v_add_co_u32_e64 v12, s[0:1], 2, v4
	v_addc_co_u32_e64 v13, s[0:1], 0, v10, s[0:1]
	v_add_co_u32_e64 v14, s[0:1], 1, v4
	v_addc_co_u32_e64 v15, s[0:1], 0, v10, s[0:1]
	v_subb_co_u32_e32 v9, vcc, v6, v9, vcc
	v_cmp_ne_u32_e64 s[0:1], 0, v11
	v_cmp_le_u32_e32 vcc, s25, v9
	v_cndmask_b32_e64 v11, v15, v13, s[0:1]
	v_cndmask_b32_e64 v13, 0, -1, vcc
	v_cmp_le_u32_e32 vcc, s24, v8
	v_cndmask_b32_e64 v8, 0, -1, vcc
	v_cmp_eq_u32_e32 vcc, s25, v9
	v_cndmask_b32_e32 v8, v13, v8, vcc
	v_cmp_ne_u32_e32 vcc, 0, v8
	v_cndmask_b32_e64 v8, v14, v12, s[0:1]
	v_cndmask_b32_e32 v23, v10, v11, vcc
	v_cndmask_b32_e32 v22, v4, v8, vcc
.LBB0_4:                                ;   in Loop: Header=BB0_2 Depth=1
	s_andn2_saveexec_b64 s[0:1], s[26:27]
	s_cbranch_execz .LBB0_6
; %bb.5:                                ;   in Loop: Header=BB0_2 Depth=1
	v_cvt_f32_u32_e32 v4, s24
	s_sub_i32 s26, 0, s24
	v_mov_b32_e32 v23, v3
	v_rcp_iflag_f32_e32 v4, v4
	v_mul_f32_e32 v4, 0x4f7ffffe, v4
	v_cvt_u32_f32_e32 v4, v4
	v_mul_lo_u32 v8, s26, v4
	v_mul_hi_u32 v8, v4, v8
	v_add_u32_e32 v4, v4, v8
	v_mul_hi_u32 v4, v5, v4
	v_mul_lo_u32 v8, v4, s24
	v_add_u32_e32 v9, 1, v4
	v_sub_u32_e32 v8, v5, v8
	v_subrev_u32_e32 v10, s24, v8
	v_cmp_le_u32_e32 vcc, s24, v8
	v_cndmask_b32_e32 v8, v8, v10, vcc
	v_cndmask_b32_e32 v4, v4, v9, vcc
	v_add_u32_e32 v9, 1, v4
	v_cmp_le_u32_e32 vcc, s24, v8
	v_cndmask_b32_e32 v22, v4, v9, vcc
.LBB0_6:                                ;   in Loop: Header=BB0_2 Depth=1
	s_or_b64 exec, exec, s[0:1]
	v_mul_lo_u32 v4, v23, s24
	v_mul_lo_u32 v10, v22, s25
	v_mad_u64_u32 v[8:9], s[0:1], v22, s24, 0
	s_load_dwordx2 s[0:1], s[6:7], 0x0
	s_load_dwordx2 s[24:25], s[2:3], 0x0
	v_add3_u32 v4, v9, v10, v4
	v_sub_co_u32_e32 v5, vcc, v5, v8
	v_subb_co_u32_e32 v4, vcc, v6, v4, vcc
	s_waitcnt lgkmcnt(0)
	v_mul_lo_u32 v6, s0, v4
	v_mul_lo_u32 v8, s1, v5
	v_mad_u64_u32 v[1:2], s[0:1], s0, v5, v[1:2]
	v_mul_lo_u32 v4, s24, v4
	v_mul_lo_u32 v9, s25, v5
	v_mad_u64_u32 v[20:21], s[0:1], s24, v5, v[20:21]
	s_add_u32 s22, s22, 1
	s_addc_u32 s23, s23, 0
	s_add_u32 s2, s2, 8
	v_add3_u32 v21, v9, v21, v4
	s_addc_u32 s3, s3, 0
	v_mov_b32_e32 v4, s14
	s_add_u32 s6, s6, 8
	v_mov_b32_e32 v5, s15
	s_addc_u32 s7, s7, 0
	v_cmp_ge_u64_e32 vcc, s[22:23], v[4:5]
	s_add_u32 s20, s20, 8
	v_add3_u32 v2, v8, v2, v6
	s_addc_u32 s21, s21, 0
	s_cbranch_vccnz .LBB0_9
; %bb.7:                                ;   in Loop: Header=BB0_2 Depth=1
	v_mov_b32_e32 v5, v22
	v_mov_b32_e32 v6, v23
	s_branch .LBB0_2
.LBB0_8:
	v_mov_b32_e32 v21, v2
	v_mov_b32_e32 v23, v6
	;; [unrolled: 1-line block ×4, first 2 shown]
.LBB0_9:
	s_load_dwordx2 s[2:3], s[4:5], 0x28
	s_lshl_b64 s[6:7], s[14:15], 3
	s_add_u32 s4, s18, s6
	v_and_b32_e32 v3, 1, v7
	s_addc_u32 s5, s19, s7
	s_waitcnt lgkmcnt(0)
	v_cmp_gt_u64_e32 vcc, s[2:3], v[22:23]
	v_cmp_le_u64_e64 s[2:3], s[2:3], v[22:23]
	v_cmp_eq_u32_e64 s[0:1], 1, v3
	v_mov_b32_e32 v3, 0x12d
                                        ; implicit-def: $vgpr24
	s_and_saveexec_b64 s[14:15], s[2:3]
	s_xor_b64 s[2:3], exec, s[14:15]
; %bb.10:
	s_mov_b32 s14, 0x8888889
	v_mul_hi_u32 v1, v0, s14
	v_mul_u32_u24_e32 v1, 30, v1
	v_sub_u32_e32 v24, v0, v1
                                        ; implicit-def: $vgpr0
                                        ; implicit-def: $vgpr1_vgpr2
; %bb.11:
	s_or_saveexec_b64 s[2:3], s[2:3]
	s_load_dwordx2 s[4:5], s[4:5], 0x0
	v_cndmask_b32_e64 v3, 0, v3, s[0:1]
	v_lshlrev_b32_e32 v32, 3, v3
	s_xor_b64 exec, exec, s[2:3]
	s_cbranch_execz .LBB0_15
; %bb.12:
	s_add_u32 s0, s16, s6
	s_addc_u32 s1, s17, s7
	s_load_dwordx2 s[0:1], s[0:1], 0x0
	s_mov_b32 s6, 0x8888889
	v_mul_hi_u32 v6, v0, s6
	s_waitcnt lgkmcnt(0)
	v_mul_lo_u32 v7, s1, v22
	v_mul_lo_u32 v8, s0, v23
	v_mad_u64_u32 v[4:5], s[0:1], s0, v22, 0
	v_mul_u32_u24_e32 v6, 30, v6
	v_sub_u32_e32 v24, v0, v6
	v_add3_u32 v5, v5, v8, v7
	v_lshlrev_b64 v[4:5], 3, v[4:5]
	v_mov_b32_e32 v0, s9
	v_add_co_u32_e64 v4, s[0:1], s8, v4
	v_addc_co_u32_e64 v5, s[0:1], v0, v5, s[0:1]
	v_lshlrev_b64 v[0:1], 3, v[1:2]
	v_lshlrev_b32_e32 v2, 3, v24
	v_add_co_u32_e64 v0, s[0:1], v4, v0
	v_addc_co_u32_e64 v1, s[0:1], v5, v1, s[0:1]
	v_add_co_u32_e64 v4, s[0:1], v0, v2
	v_addc_co_u32_e64 v5, s[0:1], 0, v1, s[0:1]
	global_load_dwordx2 v[6:7], v[4:5], off
	global_load_dwordx2 v[8:9], v[4:5], off offset:240
	global_load_dwordx2 v[10:11], v[4:5], off offset:480
	;; [unrolled: 1-line block ×9, first 2 shown]
	v_add3_u32 v2, 0, v32, v2
	v_cmp_eq_u32_e64 s[0:1], 29, v24
	v_add_u32_e32 v4, 0x400, v2
	s_waitcnt vmcnt(8)
	ds_write2_b64 v2, v[6:7], v[8:9] offset1:30
	s_waitcnt vmcnt(6)
	ds_write2_b64 v2, v[10:11], v[12:13] offset0:60 offset1:90
	s_waitcnt vmcnt(4)
	ds_write2_b64 v2, v[14:15], v[16:17] offset0:120 offset1:150
	;; [unrolled: 2-line block ×4, first 2 shown]
	s_and_saveexec_b64 s[6:7], s[0:1]
	s_cbranch_execz .LBB0_14
; %bb.13:
	global_load_dwordx2 v[0:1], v[0:1], off offset:2400
	v_mov_b32_e32 v24, 29
	s_waitcnt vmcnt(0)
	ds_write_b64 v2, v[0:1] offset:2168
.LBB0_14:
	s_or_b64 exec, exec, s[6:7]
.LBB0_15:
	s_or_b64 exec, exec, s[2:3]
	v_lshl_add_u32 v31, v3, 3, 0
	v_lshlrev_b32_e32 v0, 3, v24
	v_add_u32_e32 v4, v31, v0
	s_waitcnt lgkmcnt(0)
	; wave barrier
	s_waitcnt lgkmcnt(0)
	v_sub_u32_e32 v5, v31, v0
	ds_read_b32 v6, v4
	ds_read_b32 v7, v5 offset:2400
	v_cmp_ne_u32_e64 s[0:1], 0, v24
                                        ; implicit-def: $vgpr2_vgpr3
	s_waitcnt lgkmcnt(0)
	v_add_f32_e32 v0, v7, v6
	v_sub_f32_e32 v1, v6, v7
	s_and_saveexec_b64 s[2:3], s[0:1]
	s_xor_b64 s[2:3], exec, s[2:3]
	s_cbranch_execz .LBB0_17
; %bb.16:
	v_mov_b32_e32 v25, 0
	v_lshlrev_b64 v[0:1], 3, v[24:25]
	v_mov_b32_e32 v2, s13
	v_add_co_u32_e64 v0, s[0:1], s12, v0
	v_addc_co_u32_e64 v1, s[0:1], v2, v1, s[0:1]
	global_load_dwordx2 v[2:3], v[0:1], off offset:2320
	ds_read_b32 v0, v5 offset:2404
	ds_read_b32 v1, v4 offset:4
	v_add_f32_e32 v8, v7, v6
	v_sub_f32_e32 v9, v6, v7
	s_waitcnt lgkmcnt(0)
	v_add_f32_e32 v10, v0, v1
	v_sub_f32_e32 v0, v1, v0
	s_waitcnt vmcnt(0)
	v_fma_f32 v11, v9, v3, v8
	v_fma_f32 v1, v10, v3, v0
	v_fma_f32 v6, -v9, v3, v8
	v_fma_f32 v7, v10, v3, -v0
	v_fma_f32 v0, -v2, v10, v11
	v_fmac_f32_e32 v1, v9, v2
	v_fmac_f32_e32 v6, v2, v10
	;; [unrolled: 1-line block ×3, first 2 shown]
	v_mov_b32_e32 v2, v24
	ds_write_b64 v5, v[6:7] offset:2400
	v_mov_b32_e32 v3, v25
.LBB0_17:
	s_andn2_saveexec_b64 s[0:1], s[2:3]
	s_cbranch_execz .LBB0_19
; %bb.18:
	ds_read_b64 v[2:3], v31 offset:1200
	s_waitcnt lgkmcnt(0)
	v_add_f32_e32 v6, v2, v2
	v_mul_f32_e32 v7, -2.0, v3
	v_mov_b32_e32 v2, 0
	v_mov_b32_e32 v3, 0
	ds_write_b64 v31, v[6:7] offset:1200
.LBB0_19:
	s_or_b64 exec, exec, s[0:1]
	s_add_u32 s0, s12, 0x910
	v_lshlrev_b64 v[2:3], 3, v[2:3]
	s_addc_u32 s1, s13, 0
	v_mov_b32_e32 v6, s1
	v_add_co_u32_e64 v2, s[0:1], s0, v2
	v_addc_co_u32_e64 v3, s[0:1], v6, v3, s[0:1]
	global_load_dwordx2 v[6:7], v[2:3], off offset:240
	global_load_dwordx2 v[8:9], v[2:3], off offset:480
	;; [unrolled: 1-line block ×4, first 2 shown]
	ds_write_b64 v4, v[0:1]
	ds_read_b64 v[0:1], v4 offset:240
	ds_read_b64 v[2:3], v5 offset:2160
	v_lshl_add_u32 v19, v24, 3, 0
	v_add_u32_e32 v33, v19, v32
	s_movk_i32 s0, 0x48
	s_waitcnt lgkmcnt(0)
	v_add_f32_e32 v14, v0, v2
	v_add_f32_e32 v15, v3, v1
	v_sub_f32_e32 v16, v0, v2
	v_sub_f32_e32 v2, v1, v3
	s_waitcnt vmcnt(3)
	v_fma_f32 v17, v16, v7, v14
	v_fma_f32 v3, v15, v7, v2
	v_fma_f32 v0, -v16, v7, v14
	v_fma_f32 v1, v15, v7, -v2
	v_fma_f32 v2, -v6, v15, v17
	v_fmac_f32_e32 v3, v16, v6
	v_fmac_f32_e32 v0, v6, v15
	v_fmac_f32_e32 v1, v16, v6
	ds_write_b64 v4, v[2:3] offset:240
	ds_write_b64 v5, v[0:1] offset:2160
	ds_read_b64 v[0:1], v4 offset:480
	ds_read_b64 v[2:3], v5 offset:1920
	s_waitcnt lgkmcnt(0)
	v_add_f32_e32 v6, v0, v2
	v_add_f32_e32 v7, v3, v1
	v_sub_f32_e32 v14, v0, v2
	v_sub_f32_e32 v0, v1, v3
	s_waitcnt vmcnt(2)
	v_fma_f32 v15, v14, v9, v6
	v_fma_f32 v1, v7, v9, v0
	v_fma_f32 v2, -v14, v9, v6
	v_fma_f32 v3, v7, v9, -v0
	v_fma_f32 v0, -v8, v7, v15
	v_fmac_f32_e32 v1, v14, v8
	v_fmac_f32_e32 v2, v8, v7
	v_fmac_f32_e32 v3, v14, v8
	ds_write_b64 v4, v[0:1] offset:480
	ds_write_b64 v5, v[2:3] offset:1920
	ds_read_b64 v[0:1], v4 offset:720
	ds_read_b64 v[2:3], v5 offset:1680
	;; [unrolled: 18-line block ×3, first 2 shown]
	s_waitcnt lgkmcnt(0)
	v_add_f32_e32 v6, v0, v2
	v_add_f32_e32 v7, v3, v1
	v_sub_f32_e32 v8, v0, v2
	v_sub_f32_e32 v0, v1, v3
	s_waitcnt vmcnt(0)
	v_fma_f32 v9, v8, v13, v6
	v_fma_f32 v1, v7, v13, v0
	v_fma_f32 v2, -v8, v13, v6
	v_fma_f32 v3, v7, v13, -v0
	v_fma_f32 v0, -v12, v7, v9
	v_fmac_f32_e32 v1, v8, v12
	v_fmac_f32_e32 v2, v12, v7
	;; [unrolled: 1-line block ×3, first 2 shown]
	ds_write_b64 v4, v[0:1] offset:960
	ds_write_b64 v5, v[2:3] offset:1440
	s_waitcnt lgkmcnt(0)
	; wave barrier
	s_waitcnt lgkmcnt(0)
	s_waitcnt lgkmcnt(0)
	; wave barrier
	s_waitcnt lgkmcnt(0)
	ds_read2_b64 v[0:3], v33 offset0:150 offset1:180
	ds_read2_b64 v[5:8], v33 offset0:210 offset1:240
	;; [unrolled: 1-line block ×3, first 2 shown]
	ds_read_b64 v[17:18], v33 offset:2160
	ds_read2_b64 v[13:16], v33 offset0:30 offset1:60
	ds_read_b64 v[25:26], v4
	s_waitcnt lgkmcnt(4)
	v_add_f32_e32 v27, v0, v5
	v_add_f32_e32 v29, v1, v6
	s_waitcnt lgkmcnt(2)
	v_add_f32_e32 v28, v9, v17
	v_add_f32_e32 v30, v10, v18
	s_waitcnt lgkmcnt(0)
	v_add_f32_e32 v39, v26, v16
	v_add_f32_e32 v42, v13, v9
	v_add_f32_e32 v43, v14, v10
	v_add_f32_e32 v34, v25, v15
	v_sub_f32_e32 v35, v16, v8
	v_sub_f32_e32 v40, v16, v12
	v_add_f32_e32 v41, v16, v8
	v_sub_f32_e32 v16, v12, v16
	v_sub_f32_e32 v45, v12, v3
	v_add_f32_e32 v46, v12, v3
	v_fma_f32 v27, -0.5, v27, v13
	v_fma_f32 v13, -0.5, v28, v13
	;; [unrolled: 1-line block ×4, first 2 shown]
	v_add_f32_e32 v12, v39, v12
	v_add_f32_e32 v29, v42, v0
	;; [unrolled: 1-line block ×3, first 2 shown]
	v_sub_f32_e32 v36, v15, v11
	v_sub_f32_e32 v38, v11, v15
	v_add_f32_e32 v44, v11, v2
	v_sub_f32_e32 v47, v11, v2
	v_sub_f32_e32 v48, v10, v18
	;; [unrolled: 1-line block ×5, first 2 shown]
	v_add_f32_e32 v11, v34, v11
	v_sub_f32_e32 v10, v1, v10
	v_add_f32_e32 v12, v12, v3
	v_sub_f32_e32 v43, v1, v6
	v_sub_f32_e32 v52, v0, v5
	v_add_f32_e32 v0, v29, v5
	v_add_f32_e32 v1, v30, v6
	v_sub_f32_e32 v9, v9, v17
	v_add_f32_e32 v11, v11, v2
	v_sub_f32_e32 v34, v7, v2
	v_sub_f32_e32 v39, v2, v7
	;; [unrolled: 1-line block ×4, first 2 shown]
	v_add_f32_e32 v8, v12, v8
	v_sub_f32_e32 v3, v17, v5
	v_sub_f32_e32 v5, v5, v17
	v_add_f32_e32 v12, v0, v17
	v_add_f32_e32 v17, v1, v18
	v_mov_b32_e32 v0, v27
	v_mov_b32_e32 v1, v28
	v_add_f32_e32 v37, v15, v7
	v_sub_f32_e32 v15, v15, v7
	v_add_f32_e32 v7, v11, v7
	v_sub_f32_e32 v11, v18, v6
	v_fmac_f32_e32 v0, 0xbf737871, v48
	v_fmac_f32_e32 v1, 0x3f737871, v9
	v_fma_f32 v44, -0.5, v44, v25
	v_fma_f32 v46, -0.5, v46, v26
	v_add_f32_e32 v30, v49, v3
	v_add_f32_e32 v11, v51, v11
	v_fmac_f32_e32 v0, 0xbf167918, v43
	v_fmac_f32_e32 v1, 0x3f167918, v52
	v_mov_b32_e32 v49, v44
	v_mov_b32_e32 v51, v46
	v_fmac_f32_e32 v0, 0x3e9e377a, v30
	v_fmac_f32_e32 v1, 0x3e9e377a, v11
	;; [unrolled: 1-line block ×4, first 2 shown]
	v_sub_f32_e32 v6, v6, v18
	v_add_f32_e32 v18, v36, v34
	v_add_f32_e32 v29, v40, v2
	v_mul_f32_e32 v36, 0xbf167918, v1
	v_mul_f32_e32 v40, 0x3f167918, v0
	v_fmac_f32_e32 v49, 0xbf167918, v45
	v_fmac_f32_e32 v51, 0x3f167918, v47
	v_fma_f32 v25, -0.5, v37, v25
	v_fmac_f32_e32 v36, 0x3f4f1bbd, v0
	v_fmac_f32_e32 v40, 0x3f4f1bbd, v1
	;; [unrolled: 1-line block ×4, first 2 shown]
	v_mad_u32_u24 v34, v24, s0, v19
	v_mov_b32_e32 v37, v25
	v_add_f32_e32 v0, v7, v12
	v_add_f32_e32 v1, v8, v17
	;; [unrolled: 1-line block ×4, first 2 shown]
	v_add_u32_e32 v19, v34, v32
	v_fmac_f32_e32 v37, 0x3f737871, v45
	v_fmac_f32_e32 v25, 0xbf737871, v45
	s_waitcnt lgkmcnt(0)
	; wave barrier
	ds_write2_b64 v19, v[0:1], v[2:3] offset1:1
	v_add_f32_e32 v0, v38, v39
	v_fmac_f32_e32 v37, 0xbf167918, v35
	v_fmac_f32_e32 v25, 0x3f167918, v35
	v_fmac_f32_e32 v26, -0.5, v41
	v_fmac_f32_e32 v37, 0x3e9e377a, v0
	v_fmac_f32_e32 v25, 0x3e9e377a, v0
	v_add_f32_e32 v0, v16, v42
	v_mov_b32_e32 v16, v26
	v_fmac_f32_e32 v16, 0xbf737871, v47
	v_fmac_f32_e32 v26, 0x3f737871, v47
	v_mov_b32_e32 v1, v13
	v_fmac_f32_e32 v16, 0x3f167918, v15
	v_fmac_f32_e32 v26, 0xbf167918, v15
	v_fmac_f32_e32 v1, 0x3f737871, v43
	v_fmac_f32_e32 v13, 0xbf737871, v43
	v_mov_b32_e32 v2, v14
	v_fmac_f32_e32 v16, 0x3e9e377a, v0
	v_fmac_f32_e32 v26, 0x3e9e377a, v0
	v_add_f32_e32 v0, v50, v5
	v_fmac_f32_e32 v1, 0xbf167918, v48
	v_fmac_f32_e32 v13, 0x3f167918, v48
	;; [unrolled: 1-line block ×6, first 2 shown]
	v_add_f32_e32 v0, v10, v6
	v_fmac_f32_e32 v2, 0x3f167918, v9
	v_fmac_f32_e32 v14, 0xbf167918, v9
	;; [unrolled: 1-line block ×4, first 2 shown]
	v_mul_f32_e32 v10, 0xbf737871, v2
	v_mul_f32_e32 v38, 0x3e9e377a, v2
	;; [unrolled: 1-line block ×4, first 2 shown]
	v_fmac_f32_e32 v28, 0xbf737871, v9
	v_fmac_f32_e32 v10, 0x3e9e377a, v1
	;; [unrolled: 1-line block ×7, first 2 shown]
	v_add_f32_e32 v0, v37, v10
	v_add_f32_e32 v1, v16, v38
	;; [unrolled: 1-line block ×4, first 2 shown]
	v_fmac_f32_e32 v44, 0x3f737871, v35
	v_fmac_f32_e32 v46, 0xbf737871, v15
	;; [unrolled: 1-line block ×4, first 2 shown]
	ds_write2_b64 v19, v[0:1], v[2:3] offset0:2 offset1:3
	v_sub_f32_e32 v2, v7, v12
	v_fmac_f32_e32 v44, 0x3f167918, v45
	v_fmac_f32_e32 v46, 0xbf167918, v47
	;; [unrolled: 1-line block ×3, first 2 shown]
	v_mul_f32_e32 v11, 0xbf167918, v28
	v_mul_f32_e32 v12, 0xbf4f1bbd, v28
	v_fmac_f32_e32 v44, 0x3e9e377a, v18
	v_fmac_f32_e32 v46, 0x3e9e377a, v29
	;; [unrolled: 1-line block ×4, first 2 shown]
	v_sub_f32_e32 v0, v25, v5
	v_sub_f32_e32 v3, v8, v17
	;; [unrolled: 1-line block ×3, first 2 shown]
	v_add_f32_e32 v9, v44, v11
	v_add_f32_e32 v10, v46, v12
	s_movk_i32 s0, 0xcd
	v_sub_f32_e32 v1, v26, v6
	v_sub_f32_e32 v5, v49, v36
	;; [unrolled: 1-line block ×6, first 2 shown]
	ds_write2_b64 v19, v[9:10], v[2:3] offset0:4 offset1:5
	ds_write2_b64 v19, v[5:6], v[7:8] offset0:6 offset1:7
	;; [unrolled: 1-line block ×3, first 2 shown]
	v_mul_lo_u16_sdwa v0, v24, s0 dst_sel:DWORD dst_unused:UNUSED_PAD src0_sel:BYTE_0 src1_sel:DWORD
	v_lshrrev_b16_e32 v19, 11, v0
	v_mul_lo_u16_e32 v0, 10, v19
	v_sub_u16_e32 v29, v24, v0
	v_mov_b32_e32 v0, 9
	v_mul_u32_u24_sdwa v0, v29, v0 dst_sel:DWORD dst_unused:UNUSED_PAD src0_sel:BYTE_0 src1_sel:DWORD
	v_lshlrev_b32_e32 v25, 3, v0
	s_waitcnt lgkmcnt(0)
	; wave barrier
	s_waitcnt lgkmcnt(0)
	global_load_dwordx4 v[0:3], v25, s[12:13]
	global_load_dwordx4 v[5:8], v25, s[12:13] offset:16
	global_load_dwordx4 v[9:12], v25, s[12:13] offset:32
	global_load_dwordx4 v[13:16], v25, s[12:13] offset:48
	global_load_dwordx2 v[17:18], v25, s[12:13] offset:64
	ds_read2_b64 v[25:28], v33 offset0:30 offset1:60
	ds_read2_b64 v[35:38], v33 offset0:90 offset1:120
	s_movk_i32 s0, 0x320
	s_waitcnt vmcnt(4) lgkmcnt(1)
	v_mul_f32_e32 v30, v1, v26
	v_mul_f32_e32 v1, v1, v25
	v_fmac_f32_e32 v30, v0, v25
	v_fma_f32 v25, v0, v26, -v1
	v_mul_f32_e32 v26, v3, v28
	v_mul_f32_e32 v0, v3, v27
	v_fmac_f32_e32 v26, v2, v27
	v_fma_f32 v27, v2, v28, -v0
	s_waitcnt vmcnt(3) lgkmcnt(0)
	v_mul_f32_e32 v28, v6, v36
	v_mul_f32_e32 v0, v6, v35
	v_fmac_f32_e32 v28, v5, v35
	v_fma_f32 v35, v5, v36, -v0
	ds_read2_b64 v[0:3], v33 offset0:150 offset1:180
	v_mul_f32_e32 v36, v8, v38
	v_mul_f32_e32 v5, v8, v37
	v_fmac_f32_e32 v36, v7, v37
	v_fma_f32 v37, v7, v38, -v5
	ds_read2_b64 v[5:8], v33 offset0:210 offset1:240
	s_waitcnt vmcnt(2) lgkmcnt(1)
	v_mul_f32_e32 v38, v10, v1
	v_fmac_f32_e32 v38, v9, v0
	v_mul_f32_e32 v0, v10, v0
	v_fma_f32 v9, v9, v1, -v0
	v_mul_f32_e32 v10, v3, v12
	v_mul_f32_e32 v0, v2, v12
	v_fmac_f32_e32 v10, v2, v11
	v_fma_f32 v11, v3, v11, -v0
	s_waitcnt vmcnt(1) lgkmcnt(0)
	v_mul_f32_e32 v12, v6, v14
	v_mul_f32_e32 v0, v5, v14
	v_fmac_f32_e32 v12, v5, v13
	v_fma_f32 v13, v6, v13, -v0
	ds_read_b64 v[0:1], v33 offset:2160
	v_mul_f32_e32 v14, v8, v16
	v_mul_f32_e32 v2, v7, v16
	v_fmac_f32_e32 v14, v7, v15
	v_fma_f32 v7, v8, v15, -v2
	ds_read_b64 v[2:3], v4
	s_waitcnt vmcnt(0) lgkmcnt(1)
	v_mul_f32_e32 v8, v1, v18
	v_fmac_f32_e32 v8, v0, v17
	v_mul_f32_e32 v0, v0, v18
	v_fma_f32 v15, v1, v17, -v0
	v_sub_f32_e32 v0, v26, v36
	v_sub_f32_e32 v1, v14, v10
	v_add_f32_e32 v16, v0, v1
	v_sub_f32_e32 v0, v27, v37
	v_sub_f32_e32 v1, v7, v11
	v_add_f32_e32 v17, v0, v1
	;; [unrolled: 3-line block ×4, first 2 shown]
	v_add_f32_e32 v1, v9, v13
	v_add_f32_e32 v0, v38, v12
	v_fma_f32 v43, -0.5, v1, v25
	v_fma_f32 v40, -0.5, v0, v30
	v_sub_f32_e32 v44, v28, v8
	v_mov_b32_e32 v1, v43
	v_sub_f32_e32 v41, v35, v15
	v_mov_b32_e32 v0, v40
	v_fmac_f32_e32 v1, 0x3f737871, v44
	v_sub_f32_e32 v45, v38, v12
	v_fmac_f32_e32 v0, 0xbf737871, v41
	v_sub_f32_e32 v42, v9, v13
	v_fmac_f32_e32 v1, 0x3f167918, v45
	v_fmac_f32_e32 v0, 0xbf167918, v42
	;; [unrolled: 1-line block ×4, first 2 shown]
	v_mul_f32_e32 v46, 0xbf167918, v1
	v_mul_f32_e32 v47, 0x3f4f1bbd, v1
	v_fmac_f32_e32 v46, 0x3f4f1bbd, v0
	v_fmac_f32_e32 v47, 0x3f167918, v0
	v_mov_b32_e32 v0, 3
	v_lshlrev_b32_sdwa v0, v0, v29 dst_sel:DWORD dst_unused:UNUSED_PAD src0_sel:DWORD src1_sel:BYTE_0
	v_mad_u32_u24 v1, v19, s0, 0
	v_add3_u32 v19, v1, v0, v32
	s_waitcnt lgkmcnt(0)
	v_add_f32_e32 v0, v2, v26
	v_add_f32_e32 v0, v0, v36
	;; [unrolled: 1-line block ×5, first 2 shown]
	v_fma_f32 v48, -0.5, v0, v2
	v_add_f32_e32 v0, v3, v27
	v_add_f32_e32 v0, v0, v37
	;; [unrolled: 1-line block ×5, first 2 shown]
	v_fma_f32 v53, -0.5, v0, v3
	v_add_f32_e32 v0, v30, v28
	v_add_f32_e32 v0, v0, v38
	;; [unrolled: 1-line block ×3, first 2 shown]
	v_sub_f32_e32 v49, v27, v7
	v_mov_b32_e32 v50, v48
	v_sub_f32_e32 v54, v26, v14
	v_mov_b32_e32 v55, v53
	v_add_f32_e32 v57, v0, v8
	v_add_f32_e32 v0, v25, v35
	v_fmac_f32_e32 v50, 0xbf737871, v49
	v_sub_f32_e32 v51, v37, v11
	v_fmac_f32_e32 v55, 0x3f737871, v54
	v_sub_f32_e32 v56, v36, v10
	v_add_f32_e32 v0, v0, v9
	v_fmac_f32_e32 v50, 0xbf167918, v51
	v_fmac_f32_e32 v55, 0x3f167918, v56
	v_add_f32_e32 v0, v0, v13
	v_fmac_f32_e32 v50, 0x3e9e377a, v16
	v_fmac_f32_e32 v55, 0x3e9e377a, v17
	v_add_f32_e32 v58, v0, v15
	v_add_f32_e32 v0, v29, v57
	;; [unrolled: 1-line block ×5, first 2 shown]
	s_waitcnt lgkmcnt(0)
	; wave barrier
	ds_write2_b64 v19, v[0:1], v[5:6] offset1:10
	v_add_f32_e32 v1, v26, v14
	v_fma_f32 v2, -0.5, v1, v2
	v_sub_f32_e32 v5, v10, v14
	v_mov_b32_e32 v10, v2
	v_sub_f32_e32 v0, v36, v26
	v_fmac_f32_e32 v10, 0x3f737871, v51
	v_fmac_f32_e32 v2, 0xbf737871, v51
	v_add_f32_e32 v0, v0, v5
	v_fmac_f32_e32 v10, 0xbf167918, v49
	v_fmac_f32_e32 v2, 0x3f167918, v49
	;; [unrolled: 1-line block ×4, first 2 shown]
	v_add_f32_e32 v0, v27, v7
	v_fmac_f32_e32 v3, -0.5, v0
	v_sub_f32_e32 v1, v11, v7
	v_mov_b32_e32 v11, v3
	v_sub_f32_e32 v0, v37, v27
	v_fmac_f32_e32 v11, 0xbf737871, v56
	v_fmac_f32_e32 v3, 0x3f737871, v56
	v_add_f32_e32 v0, v0, v1
	v_fmac_f32_e32 v11, 0x3f167918, v54
	v_fmac_f32_e32 v3, 0xbf167918, v54
	;; [unrolled: 1-line block ×4, first 2 shown]
	v_add_f32_e32 v0, v28, v8
	v_fmac_f32_e32 v30, -0.5, v0
	v_sub_f32_e32 v0, v38, v28
	v_sub_f32_e32 v1, v12, v8
	v_add_f32_e32 v0, v0, v1
	v_mov_b32_e32 v1, v30
	v_fmac_f32_e32 v1, 0x3f737871, v42
	v_fmac_f32_e32 v30, 0xbf737871, v42
	;; [unrolled: 1-line block ×6, first 2 shown]
	v_add_f32_e32 v0, v35, v15
	v_fmac_f32_e32 v25, -0.5, v0
	v_sub_f32_e32 v0, v9, v35
	v_sub_f32_e32 v5, v13, v15
	v_add_f32_e32 v0, v0, v5
	v_mov_b32_e32 v5, v25
	v_fmac_f32_e32 v5, 0xbf737871, v45
	v_fmac_f32_e32 v25, 0x3f737871, v45
	;; [unrolled: 1-line block ×9, first 2 shown]
	v_mul_f32_e32 v7, 0xbf737871, v5
	v_mul_f32_e32 v8, 0x3e9e377a, v5
	;; [unrolled: 1-line block ×4, first 2 shown]
	v_fmac_f32_e32 v48, 0x3f737871, v49
	v_fmac_f32_e32 v53, 0xbf737871, v54
	;; [unrolled: 1-line block ×11, first 2 shown]
	v_mul_f32_e32 v13, 0xbf167918, v43
	v_mul_f32_e32 v14, 0xbf4f1bbd, v43
	v_add_f32_e32 v0, v10, v7
	v_add_f32_e32 v1, v11, v8
	;; [unrolled: 1-line block ×4, first 2 shown]
	v_fmac_f32_e32 v48, 0x3e9e377a, v16
	v_fmac_f32_e32 v53, 0x3e9e377a, v17
	;; [unrolled: 1-line block ×4, first 2 shown]
	ds_write2_b64 v19, v[0:1], v[5:6] offset0:20 offset1:30
	v_sub_f32_e32 v0, v29, v57
	v_sub_f32_e32 v1, v52, v58
	v_add_f32_e32 v5, v48, v13
	v_add_f32_e32 v6, v53, v14
	ds_write2_b64 v19, v[5:6], v[0:1] offset0:40 offset1:50
	v_sub_f32_e32 v2, v2, v9
	v_sub_f32_e32 v5, v50, v46
	;; [unrolled: 1-line block ×8, first 2 shown]
	ds_write2_b64 v19, v[5:6], v[7:8] offset0:60 offset1:70
	ds_write2_b64 v19, v[2:3], v[0:1] offset0:80 offset1:90
	v_add_u32_e32 v2, 0x400, v33
	s_waitcnt lgkmcnt(0)
	; wave barrier
	s_waitcnt lgkmcnt(0)
	ds_read_b64 v[27:28], v4
	ds_read2_b64 v[8:11], v33 offset0:100 offset1:130
	ds_read2_b64 v[12:15], v2 offset0:102 offset1:132
	;; [unrolled: 1-line block ×4, first 2 shown]
	v_mul_i32_i24_e32 v35, 0xffffffb8, v24
	v_cmp_gt_u32_e64 s[0:1], 10, v24
                                        ; implicit-def: $vgpr26
	s_and_saveexec_b64 s[2:3], s[0:1]
	s_cbranch_execz .LBB0_21
; %bb.20:
	ds_read2_b64 v[0:3], v33 offset0:90 offset1:190
	ds_read_b64 v[25:26], v33 offset:2320
.LBB0_21:
	s_or_b64 exec, exec, s[2:3]
	v_lshlrev_b32_e32 v29, 1, v24
	v_mov_b32_e32 v30, 0
	v_lshlrev_b64 v[36:37], 3, v[29:30]
	v_add_u32_e32 v40, 60, v29
	v_mov_b32_e32 v41, v30
	v_mov_b32_e32 v46, s13
	v_add_co_u32_e64 v36, s[2:3], s12, v36
	v_lshlrev_b64 v[40:41], 3, v[40:41]
	v_addc_co_u32_e64 v37, s[2:3], v46, v37, s[2:3]
	v_add_u32_e32 v29, 0x78, v29
	v_add_co_u32_e64 v40, s[2:3], s12, v40
	v_lshlrev_b64 v[44:45], 3, v[29:30]
	v_addc_co_u32_e64 v41, s[2:3], v46, v41, s[2:3]
	v_add_co_u32_e64 v44, s[2:3], s12, v44
	global_load_dwordx4 v[36:39], v[36:37], off offset:720
	v_addc_co_u32_e64 v45, s[2:3], v46, v45, s[2:3]
	global_load_dwordx4 v[40:43], v[40:41], off offset:720
	v_add3_u32 v29, v34, v35, v32
	global_load_dwordx4 v[44:47], v[44:45], off offset:720
	s_waitcnt lgkmcnt(0)
	; wave barrier
	s_waitcnt vmcnt(2) lgkmcnt(0)
	v_mul_f32_e32 v32, v37, v9
	v_mul_f32_e32 v34, v37, v8
	;; [unrolled: 1-line block ×4, first 2 shown]
	v_fmac_f32_e32 v32, v36, v8
	v_fma_f32 v8, v36, v9, -v34
	v_fmac_f32_e32 v35, v38, v18
	v_fma_f32 v9, v38, v19, -v37
	s_waitcnt vmcnt(1)
	v_mul_f32_e32 v18, v41, v11
	v_mul_f32_e32 v19, v41, v10
	;; [unrolled: 1-line block ×4, first 2 shown]
	s_waitcnt vmcnt(0)
	v_mul_f32_e32 v37, v45, v17
	v_mul_f32_e32 v38, v45, v16
	;; [unrolled: 1-line block ×4, first 2 shown]
	v_fmac_f32_e32 v18, v40, v10
	v_fma_f32 v10, v40, v11, -v19
	v_fmac_f32_e32 v34, v42, v12
	v_fma_f32 v13, v42, v13, -v36
	;; [unrolled: 2-line block ×3, first 2 shown]
	v_add_f32_e32 v12, v32, v35
	v_add_f32_e32 v17, v28, v8
	;; [unrolled: 1-line block ×3, first 2 shown]
	v_fmac_f32_e32 v39, v46, v14
	v_fma_f32 v14, v46, v15, -v41
	v_add_f32_e32 v11, v27, v32
	v_sub_f32_e32 v15, v8, v9
	v_fma_f32 v27, -0.5, v12, v27
	v_add_f32_e32 v9, v17, v9
	v_fmac_f32_e32 v28, -0.5, v19
	v_add_f32_e32 v12, v4, v18
	v_add_f32_e32 v17, v18, v34
	v_add_f32_e32 v36, v10, v13
	v_add_f32_e32 v42, v7, v16
	v_sub_f32_e32 v32, v32, v35
	v_add_f32_e32 v8, v11, v35
	v_sub_f32_e32 v19, v10, v13
	v_add_f32_e32 v35, v5, v10
	;; [unrolled: 2-line block ×3, first 2 shown]
	v_sub_f32_e32 v41, v16, v14
	v_mov_b32_e32 v10, v27
	v_mov_b32_e32 v11, v28
	v_add_f32_e32 v12, v12, v34
	v_fma_f32 v17, -0.5, v17, v4
	v_fma_f32 v34, -0.5, v36, v5
	v_add_f32_e32 v5, v42, v14
	v_add_f32_e32 v14, v16, v14
	;; [unrolled: 1-line block ×3, first 2 shown]
	v_fmac_f32_e32 v27, 0x3f5db3d7, v15
	v_fmac_f32_e32 v28, 0xbf5db3d7, v32
	v_fma_f32 v6, -0.5, v40, v6
	v_fmac_f32_e32 v10, 0xbf5db3d7, v15
	v_fmac_f32_e32 v11, 0x3f5db3d7, v32
	v_mov_b32_e32 v15, v17
	v_mov_b32_e32 v32, v34
	v_fmac_f32_e32 v7, -0.5, v14
	v_add_f32_e32 v13, v35, v13
	v_add_f32_e32 v4, v38, v39
	v_mov_b32_e32 v35, v6
	v_fmac_f32_e32 v15, 0xbf5db3d7, v19
	v_fmac_f32_e32 v32, 0x3f5db3d7, v18
	v_sub_f32_e32 v14, v37, v39
	v_mov_b32_e32 v16, v7
	ds_write2_b64 v33, v[10:11], v[27:28] offset0:100 offset1:200
	ds_write2_b64 v33, v[8:9], v[12:13] offset1:30
	v_add_u32_e32 v8, 0x400, v29
	v_fmac_f32_e32 v17, 0x3f5db3d7, v19
	v_fmac_f32_e32 v34, 0xbf5db3d7, v18
	v_fmac_f32_e32 v6, 0x3f5db3d7, v41
	v_fmac_f32_e32 v35, 0xbf5db3d7, v41
	v_fmac_f32_e32 v16, 0x3f5db3d7, v14
	v_fmac_f32_e32 v7, 0xbf5db3d7, v14
	ds_write2_b32 v8, v15, v32 offset0:4 offset1:5
	ds_write2_b32 v8, v17, v34 offset0:204 offset1:205
	ds_write_b64 v33, v[4:5] offset:480
	ds_write2_b32 v8, v35, v16 offset0:64 offset1:65
	v_add_u32_e32 v4, 0x800, v29
	ds_write2_b32 v4, v6, v7 offset0:8 offset1:9
	s_and_saveexec_b64 s[2:3], s[0:1]
	s_cbranch_execz .LBB0_23
; %bb.22:
	v_mov_b32_e32 v4, 0x5a
	v_cndmask_b32_e64 v4, -10, v4, s[0:1]
	v_add_lshl_u32 v29, v24, v4, 1
	v_lshlrev_b64 v[4:5], 3, v[29:30]
	v_mov_b32_e32 v6, s13
	v_add_co_u32_e64 v4, s[0:1], s12, v4
	v_addc_co_u32_e64 v5, s[0:1], v6, v5, s[0:1]
	global_load_dwordx4 v[4:7], v[4:5], off offset:720
	s_waitcnt vmcnt(0)
	v_mul_f32_e32 v8, v2, v5
	v_mul_f32_e32 v9, v25, v7
	;; [unrolled: 1-line block ×4, first 2 shown]
	v_fma_f32 v3, v3, v4, -v8
	v_fma_f32 v8, v26, v6, -v9
	v_fmac_f32_e32 v5, v2, v4
	v_fmac_f32_e32 v7, v25, v6
	v_add_f32_e32 v2, v3, v8
	v_add_f32_e32 v9, v5, v7
	v_sub_f32_e32 v6, v5, v7
	v_add_f32_e32 v4, v1, v3
	v_sub_f32_e32 v10, v3, v8
	v_add_f32_e32 v5, v0, v5
	v_fma_f32 v1, -0.5, v2, v1
	v_fma_f32 v0, -0.5, v9, v0
	v_add_f32_e32 v3, v4, v8
	v_add_f32_e32 v2, v5, v7
	v_mov_b32_e32 v5, v1
	v_fmac_f32_e32 v1, 0x3f5db3d7, v6
	v_mov_b32_e32 v4, v0
	v_fmac_f32_e32 v0, 0xbf5db3d7, v10
	v_fmac_f32_e32 v5, 0xbf5db3d7, v6
	v_fmac_f32_e32 v4, 0x3f5db3d7, v10
	ds_write2_b64 v33, v[2:3], v[0:1] offset0:90 offset1:190
	ds_write_b64 v33, v[4:5] offset:2320
.LBB0_23:
	s_or_b64 exec, exec, s[2:3]
	s_waitcnt lgkmcnt(0)
	; wave barrier
	s_waitcnt lgkmcnt(0)
	s_and_saveexec_b64 s[0:1], vcc
	s_cbranch_execz .LBB0_25
; %bb.24:
	v_mul_lo_u32 v0, s5, v22
	v_mul_lo_u32 v1, s4, v23
	v_mad_u64_u32 v[4:5], s[0:1], s4, v22, 0
	v_mov_b32_e32 v7, s11
	v_lshl_add_u32 v6, v24, 3, v31
	v_add3_u32 v5, v5, v1, v0
	v_lshlrev_b64 v[4:5], 3, v[4:5]
	v_mov_b32_e32 v25, 0
	v_add_co_u32_e32 v8, vcc, s10, v4
	v_addc_co_u32_e32 v7, vcc, v7, v5, vcc
	v_lshlrev_b64 v[4:5], 3, v[20:21]
	ds_read2_b64 v[0:3], v6 offset1:30
	v_add_co_u32_e32 v8, vcc, v8, v4
	v_addc_co_u32_e32 v7, vcc, v7, v5, vcc
	v_lshlrev_b64 v[4:5], 3, v[24:25]
	v_add_co_u32_e32 v4, vcc, v8, v4
	v_addc_co_u32_e32 v5, vcc, v7, v5, vcc
	s_waitcnt lgkmcnt(0)
	global_store_dwordx2 v[4:5], v[0:1], off
	v_add_u32_e32 v0, 30, v24
	v_mov_b32_e32 v1, v25
	v_lshlrev_b64 v[0:1], 3, v[0:1]
	v_add_u32_e32 v4, 60, v24
	v_add_co_u32_e32 v0, vcc, v8, v0
	v_addc_co_u32_e32 v1, vcc, v7, v1, vcc
	global_store_dwordx2 v[0:1], v[2:3], off
	v_mov_b32_e32 v5, v25
	ds_read2_b64 v[0:3], v6 offset0:60 offset1:90
	v_lshlrev_b64 v[4:5], 3, v[4:5]
	v_add_co_u32_e32 v4, vcc, v8, v4
	v_addc_co_u32_e32 v5, vcc, v7, v5, vcc
	s_waitcnt lgkmcnt(0)
	global_store_dwordx2 v[4:5], v[0:1], off
	v_add_u32_e32 v0, 0x5a, v24
	v_mov_b32_e32 v1, v25
	v_lshlrev_b64 v[0:1], 3, v[0:1]
	v_add_u32_e32 v4, 0x78, v24
	v_add_co_u32_e32 v0, vcc, v8, v0
	v_addc_co_u32_e32 v1, vcc, v7, v1, vcc
	global_store_dwordx2 v[0:1], v[2:3], off
	v_mov_b32_e32 v5, v25
	ds_read2_b64 v[0:3], v6 offset0:120 offset1:150
	;; [unrolled: 14-line block ×3, first 2 shown]
	v_lshlrev_b64 v[4:5], 3, v[4:5]
	v_add_co_u32_e32 v4, vcc, v8, v4
	v_addc_co_u32_e32 v5, vcc, v7, v5, vcc
	s_waitcnt lgkmcnt(0)
	global_store_dwordx2 v[4:5], v[0:1], off
	v_add_u32_e32 v0, 0xd2, v24
	v_mov_b32_e32 v1, v25
	v_lshlrev_b64 v[0:1], 3, v[0:1]
	v_add_u32_e32 v4, 0xf0, v24
	v_add_co_u32_e32 v0, vcc, v8, v0
	v_addc_co_u32_e32 v1, vcc, v7, v1, vcc
	global_store_dwordx2 v[0:1], v[2:3], off
	v_add_u32_e32 v0, 0x400, v6
	v_mov_b32_e32 v5, v25
	ds_read2_b64 v[0:3], v0 offset0:112 offset1:142
	v_lshlrev_b64 v[4:5], 3, v[4:5]
	v_add_u32_e32 v24, 0x10e, v24
	v_add_co_u32_e32 v4, vcc, v8, v4
	v_addc_co_u32_e32 v5, vcc, v7, v5, vcc
	s_waitcnt lgkmcnt(0)
	global_store_dwordx2 v[4:5], v[0:1], off
	v_lshlrev_b64 v[0:1], 3, v[24:25]
	v_add_co_u32_e32 v0, vcc, v8, v0
	v_addc_co_u32_e32 v1, vcc, v7, v1, vcc
	global_store_dwordx2 v[0:1], v[2:3], off
.LBB0_25:
	s_endpgm
	.section	.rodata,"a",@progbits
	.p2align	6, 0x0
	.amdhsa_kernel fft_rtc_back_len300_factors_10_10_3_wgs_60_tpt_30_halfLds_sp_op_CI_CI_unitstride_sbrr_C2R_dirReg
		.amdhsa_group_segment_fixed_size 0
		.amdhsa_private_segment_fixed_size 0
		.amdhsa_kernarg_size 104
		.amdhsa_user_sgpr_count 6
		.amdhsa_user_sgpr_private_segment_buffer 1
		.amdhsa_user_sgpr_dispatch_ptr 0
		.amdhsa_user_sgpr_queue_ptr 0
		.amdhsa_user_sgpr_kernarg_segment_ptr 1
		.amdhsa_user_sgpr_dispatch_id 0
		.amdhsa_user_sgpr_flat_scratch_init 0
		.amdhsa_user_sgpr_private_segment_size 0
		.amdhsa_uses_dynamic_stack 0
		.amdhsa_system_sgpr_private_segment_wavefront_offset 0
		.amdhsa_system_sgpr_workgroup_id_x 1
		.amdhsa_system_sgpr_workgroup_id_y 0
		.amdhsa_system_sgpr_workgroup_id_z 0
		.amdhsa_system_sgpr_workgroup_info 0
		.amdhsa_system_vgpr_workitem_id 0
		.amdhsa_next_free_vgpr 59
		.amdhsa_next_free_sgpr 28
		.amdhsa_reserve_vcc 1
		.amdhsa_reserve_flat_scratch 0
		.amdhsa_float_round_mode_32 0
		.amdhsa_float_round_mode_16_64 0
		.amdhsa_float_denorm_mode_32 3
		.amdhsa_float_denorm_mode_16_64 3
		.amdhsa_dx10_clamp 1
		.amdhsa_ieee_mode 1
		.amdhsa_fp16_overflow 0
		.amdhsa_exception_fp_ieee_invalid_op 0
		.amdhsa_exception_fp_denorm_src 0
		.amdhsa_exception_fp_ieee_div_zero 0
		.amdhsa_exception_fp_ieee_overflow 0
		.amdhsa_exception_fp_ieee_underflow 0
		.amdhsa_exception_fp_ieee_inexact 0
		.amdhsa_exception_int_div_zero 0
	.end_amdhsa_kernel
	.text
.Lfunc_end0:
	.size	fft_rtc_back_len300_factors_10_10_3_wgs_60_tpt_30_halfLds_sp_op_CI_CI_unitstride_sbrr_C2R_dirReg, .Lfunc_end0-fft_rtc_back_len300_factors_10_10_3_wgs_60_tpt_30_halfLds_sp_op_CI_CI_unitstride_sbrr_C2R_dirReg
                                        ; -- End function
	.section	.AMDGPU.csdata,"",@progbits
; Kernel info:
; codeLenInByte = 6136
; NumSgprs: 32
; NumVgprs: 59
; ScratchSize: 0
; MemoryBound: 0
; FloatMode: 240
; IeeeMode: 1
; LDSByteSize: 0 bytes/workgroup (compile time only)
; SGPRBlocks: 3
; VGPRBlocks: 14
; NumSGPRsForWavesPerEU: 32
; NumVGPRsForWavesPerEU: 59
; Occupancy: 4
; WaveLimiterHint : 1
; COMPUTE_PGM_RSRC2:SCRATCH_EN: 0
; COMPUTE_PGM_RSRC2:USER_SGPR: 6
; COMPUTE_PGM_RSRC2:TRAP_HANDLER: 0
; COMPUTE_PGM_RSRC2:TGID_X_EN: 1
; COMPUTE_PGM_RSRC2:TGID_Y_EN: 0
; COMPUTE_PGM_RSRC2:TGID_Z_EN: 0
; COMPUTE_PGM_RSRC2:TIDIG_COMP_CNT: 0
	.type	__hip_cuid_9a0462afca0ffc19,@object ; @__hip_cuid_9a0462afca0ffc19
	.section	.bss,"aw",@nobits
	.globl	__hip_cuid_9a0462afca0ffc19
__hip_cuid_9a0462afca0ffc19:
	.byte	0                               ; 0x0
	.size	__hip_cuid_9a0462afca0ffc19, 1

	.ident	"AMD clang version 19.0.0git (https://github.com/RadeonOpenCompute/llvm-project roc-6.4.0 25133 c7fe45cf4b819c5991fe208aaa96edf142730f1d)"
	.section	".note.GNU-stack","",@progbits
	.addrsig
	.addrsig_sym __hip_cuid_9a0462afca0ffc19
	.amdgpu_metadata
---
amdhsa.kernels:
  - .args:
      - .actual_access:  read_only
        .address_space:  global
        .offset:         0
        .size:           8
        .value_kind:     global_buffer
      - .offset:         8
        .size:           8
        .value_kind:     by_value
      - .actual_access:  read_only
        .address_space:  global
        .offset:         16
        .size:           8
        .value_kind:     global_buffer
      - .actual_access:  read_only
        .address_space:  global
        .offset:         24
        .size:           8
        .value_kind:     global_buffer
      - .actual_access:  read_only
        .address_space:  global
        .offset:         32
        .size:           8
        .value_kind:     global_buffer
      - .offset:         40
        .size:           8
        .value_kind:     by_value
      - .actual_access:  read_only
        .address_space:  global
        .offset:         48
        .size:           8
        .value_kind:     global_buffer
      - .actual_access:  read_only
        .address_space:  global
        .offset:         56
        .size:           8
        .value_kind:     global_buffer
      - .offset:         64
        .size:           4
        .value_kind:     by_value
      - .actual_access:  read_only
        .address_space:  global
        .offset:         72
        .size:           8
        .value_kind:     global_buffer
      - .actual_access:  read_only
        .address_space:  global
        .offset:         80
        .size:           8
        .value_kind:     global_buffer
      - .actual_access:  read_only
        .address_space:  global
        .offset:         88
        .size:           8
        .value_kind:     global_buffer
      - .actual_access:  write_only
        .address_space:  global
        .offset:         96
        .size:           8
        .value_kind:     global_buffer
    .group_segment_fixed_size: 0
    .kernarg_segment_align: 8
    .kernarg_segment_size: 104
    .language:       OpenCL C
    .language_version:
      - 2
      - 0
    .max_flat_workgroup_size: 60
    .name:           fft_rtc_back_len300_factors_10_10_3_wgs_60_tpt_30_halfLds_sp_op_CI_CI_unitstride_sbrr_C2R_dirReg
    .private_segment_fixed_size: 0
    .sgpr_count:     32
    .sgpr_spill_count: 0
    .symbol:         fft_rtc_back_len300_factors_10_10_3_wgs_60_tpt_30_halfLds_sp_op_CI_CI_unitstride_sbrr_C2R_dirReg.kd
    .uniform_work_group_size: 1
    .uses_dynamic_stack: false
    .vgpr_count:     59
    .vgpr_spill_count: 0
    .wavefront_size: 64
amdhsa.target:   amdgcn-amd-amdhsa--gfx906
amdhsa.version:
  - 1
  - 2
...

	.end_amdgpu_metadata
